;; amdgpu-corpus repo=ROCm/rocFFT kind=compiled arch=gfx906 opt=O3
	.text
	.amdgcn_target "amdgcn-amd-amdhsa--gfx906"
	.amdhsa_code_object_version 6
	.protected	fft_rtc_back_len1125_factors_5_5_3_3_5_wgs_225_tpt_225_halfLds_dp_ip_CI_sbrr_dirReg ; -- Begin function fft_rtc_back_len1125_factors_5_5_3_3_5_wgs_225_tpt_225_halfLds_dp_ip_CI_sbrr_dirReg
	.globl	fft_rtc_back_len1125_factors_5_5_3_3_5_wgs_225_tpt_225_halfLds_dp_ip_CI_sbrr_dirReg
	.p2align	8
	.type	fft_rtc_back_len1125_factors_5_5_3_3_5_wgs_225_tpt_225_halfLds_dp_ip_CI_sbrr_dirReg,@function
fft_rtc_back_len1125_factors_5_5_3_3_5_wgs_225_tpt_225_halfLds_dp_ip_CI_sbrr_dirReg: ; @fft_rtc_back_len1125_factors_5_5_3_3_5_wgs_225_tpt_225_halfLds_dp_ip_CI_sbrr_dirReg
; %bb.0:
	s_load_dwordx2 s[14:15], s[4:5], 0x18
	s_load_dwordx4 s[8:11], s[4:5], 0x0
	s_load_dwordx2 s[12:13], s[4:5], 0x50
	v_mul_u32_u24_e32 v1, 0x124, v0
	v_add_u32_sdwa v5, s6, v1 dst_sel:DWORD dst_unused:UNUSED_PAD src0_sel:DWORD src1_sel:WORD_1
	s_waitcnt lgkmcnt(0)
	s_load_dwordx2 s[2:3], s[14:15], 0x0
	v_cmp_lt_u64_e64 s[0:1], s[10:11], 2
	v_mov_b32_e32 v3, 0
	v_mov_b32_e32 v1, 0
	;; [unrolled: 1-line block ×3, first 2 shown]
	s_and_b64 vcc, exec, s[0:1]
	v_mov_b32_e32 v2, 0
	s_cbranch_vccnz .LBB0_8
; %bb.1:
	s_load_dwordx2 s[0:1], s[4:5], 0x10
	s_add_u32 s6, s14, 8
	s_addc_u32 s7, s15, 0
	v_mov_b32_e32 v1, 0
	v_mov_b32_e32 v2, 0
	s_waitcnt lgkmcnt(0)
	s_add_u32 s16, s0, 8
	s_addc_u32 s17, s1, 0
	s_mov_b64 s[18:19], 1
.LBB0_2:                                ; =>This Inner Loop Header: Depth=1
	s_load_dwordx2 s[20:21], s[16:17], 0x0
                                        ; implicit-def: $vgpr7_vgpr8
	s_waitcnt lgkmcnt(0)
	v_or_b32_e32 v4, s21, v6
	v_cmp_ne_u64_e32 vcc, 0, v[3:4]
	s_and_saveexec_b64 s[0:1], vcc
	s_xor_b64 s[22:23], exec, s[0:1]
	s_cbranch_execz .LBB0_4
; %bb.3:                                ;   in Loop: Header=BB0_2 Depth=1
	v_cvt_f32_u32_e32 v4, s20
	v_cvt_f32_u32_e32 v7, s21
	s_sub_u32 s0, 0, s20
	s_subb_u32 s1, 0, s21
	v_mac_f32_e32 v4, 0x4f800000, v7
	v_rcp_f32_e32 v4, v4
	v_mul_f32_e32 v4, 0x5f7ffffc, v4
	v_mul_f32_e32 v7, 0x2f800000, v4
	v_trunc_f32_e32 v7, v7
	v_mac_f32_e32 v4, 0xcf800000, v7
	v_cvt_u32_f32_e32 v7, v7
	v_cvt_u32_f32_e32 v4, v4
	v_mul_lo_u32 v8, s0, v7
	v_mul_hi_u32 v9, s0, v4
	v_mul_lo_u32 v11, s1, v4
	v_mul_lo_u32 v10, s0, v4
	v_add_u32_e32 v8, v9, v8
	v_add_u32_e32 v8, v8, v11
	v_mul_hi_u32 v9, v4, v10
	v_mul_lo_u32 v11, v4, v8
	v_mul_hi_u32 v13, v4, v8
	v_mul_hi_u32 v12, v7, v10
	v_mul_lo_u32 v10, v7, v10
	v_mul_hi_u32 v14, v7, v8
	v_add_co_u32_e32 v9, vcc, v9, v11
	v_addc_co_u32_e32 v11, vcc, 0, v13, vcc
	v_mul_lo_u32 v8, v7, v8
	v_add_co_u32_e32 v9, vcc, v9, v10
	v_addc_co_u32_e32 v9, vcc, v11, v12, vcc
	v_addc_co_u32_e32 v10, vcc, 0, v14, vcc
	v_add_co_u32_e32 v8, vcc, v9, v8
	v_addc_co_u32_e32 v9, vcc, 0, v10, vcc
	v_add_co_u32_e32 v4, vcc, v4, v8
	v_addc_co_u32_e32 v7, vcc, v7, v9, vcc
	v_mul_lo_u32 v8, s0, v7
	v_mul_hi_u32 v9, s0, v4
	v_mul_lo_u32 v10, s1, v4
	v_mul_lo_u32 v11, s0, v4
	v_add_u32_e32 v8, v9, v8
	v_add_u32_e32 v8, v8, v10
	v_mul_lo_u32 v12, v4, v8
	v_mul_hi_u32 v13, v4, v11
	v_mul_hi_u32 v14, v4, v8
	;; [unrolled: 1-line block ×3, first 2 shown]
	v_mul_lo_u32 v11, v7, v11
	v_mul_hi_u32 v9, v7, v8
	v_add_co_u32_e32 v12, vcc, v13, v12
	v_addc_co_u32_e32 v13, vcc, 0, v14, vcc
	v_mul_lo_u32 v8, v7, v8
	v_add_co_u32_e32 v11, vcc, v12, v11
	v_addc_co_u32_e32 v10, vcc, v13, v10, vcc
	v_addc_co_u32_e32 v9, vcc, 0, v9, vcc
	v_add_co_u32_e32 v8, vcc, v10, v8
	v_addc_co_u32_e32 v9, vcc, 0, v9, vcc
	v_add_co_u32_e32 v4, vcc, v4, v8
	v_addc_co_u32_e32 v9, vcc, v7, v9, vcc
	v_mad_u64_u32 v[7:8], s[0:1], v5, v9, 0
	v_mul_hi_u32 v10, v5, v4
	v_add_co_u32_e32 v11, vcc, v10, v7
	v_addc_co_u32_e32 v12, vcc, 0, v8, vcc
	v_mad_u64_u32 v[7:8], s[0:1], v6, v4, 0
	v_mad_u64_u32 v[9:10], s[0:1], v6, v9, 0
	v_add_co_u32_e32 v4, vcc, v11, v7
	v_addc_co_u32_e32 v4, vcc, v12, v8, vcc
	v_addc_co_u32_e32 v7, vcc, 0, v10, vcc
	v_add_co_u32_e32 v4, vcc, v4, v9
	v_addc_co_u32_e32 v9, vcc, 0, v7, vcc
	v_mul_lo_u32 v10, s21, v4
	v_mul_lo_u32 v11, s20, v9
	v_mad_u64_u32 v[7:8], s[0:1], s20, v4, 0
	v_add3_u32 v8, v8, v11, v10
	v_sub_u32_e32 v10, v6, v8
	v_mov_b32_e32 v11, s21
	v_sub_co_u32_e32 v7, vcc, v5, v7
	v_subb_co_u32_e64 v10, s[0:1], v10, v11, vcc
	v_subrev_co_u32_e64 v11, s[0:1], s20, v7
	v_subbrev_co_u32_e64 v10, s[0:1], 0, v10, s[0:1]
	v_cmp_le_u32_e64 s[0:1], s21, v10
	v_cndmask_b32_e64 v12, 0, -1, s[0:1]
	v_cmp_le_u32_e64 s[0:1], s20, v11
	v_cndmask_b32_e64 v11, 0, -1, s[0:1]
	v_cmp_eq_u32_e64 s[0:1], s21, v10
	v_cndmask_b32_e64 v10, v12, v11, s[0:1]
	v_add_co_u32_e64 v11, s[0:1], 2, v4
	v_addc_co_u32_e64 v12, s[0:1], 0, v9, s[0:1]
	v_add_co_u32_e64 v13, s[0:1], 1, v4
	v_addc_co_u32_e64 v14, s[0:1], 0, v9, s[0:1]
	v_subb_co_u32_e32 v8, vcc, v6, v8, vcc
	v_cmp_ne_u32_e64 s[0:1], 0, v10
	v_cmp_le_u32_e32 vcc, s21, v8
	v_cndmask_b32_e64 v10, v14, v12, s[0:1]
	v_cndmask_b32_e64 v12, 0, -1, vcc
	v_cmp_le_u32_e32 vcc, s20, v7
	v_cndmask_b32_e64 v7, 0, -1, vcc
	v_cmp_eq_u32_e32 vcc, s21, v8
	v_cndmask_b32_e32 v7, v12, v7, vcc
	v_cmp_ne_u32_e32 vcc, 0, v7
	v_cndmask_b32_e64 v7, v13, v11, s[0:1]
	v_cndmask_b32_e32 v8, v9, v10, vcc
	v_cndmask_b32_e32 v7, v4, v7, vcc
.LBB0_4:                                ;   in Loop: Header=BB0_2 Depth=1
	s_andn2_saveexec_b64 s[0:1], s[22:23]
	s_cbranch_execz .LBB0_6
; %bb.5:                                ;   in Loop: Header=BB0_2 Depth=1
	v_cvt_f32_u32_e32 v4, s20
	s_sub_i32 s22, 0, s20
	v_rcp_iflag_f32_e32 v4, v4
	v_mul_f32_e32 v4, 0x4f7ffffe, v4
	v_cvt_u32_f32_e32 v4, v4
	v_mul_lo_u32 v7, s22, v4
	v_mul_hi_u32 v7, v4, v7
	v_add_u32_e32 v4, v4, v7
	v_mul_hi_u32 v4, v5, v4
	v_mul_lo_u32 v7, v4, s20
	v_add_u32_e32 v8, 1, v4
	v_sub_u32_e32 v7, v5, v7
	v_subrev_u32_e32 v9, s20, v7
	v_cmp_le_u32_e32 vcc, s20, v7
	v_cndmask_b32_e32 v7, v7, v9, vcc
	v_cndmask_b32_e32 v4, v4, v8, vcc
	v_add_u32_e32 v8, 1, v4
	v_cmp_le_u32_e32 vcc, s20, v7
	v_cndmask_b32_e32 v7, v4, v8, vcc
	v_mov_b32_e32 v8, v3
.LBB0_6:                                ;   in Loop: Header=BB0_2 Depth=1
	s_or_b64 exec, exec, s[0:1]
	v_mul_lo_u32 v4, v8, s20
	v_mul_lo_u32 v11, v7, s21
	v_mad_u64_u32 v[9:10], s[0:1], v7, s20, 0
	s_load_dwordx2 s[0:1], s[6:7], 0x0
	s_add_u32 s18, s18, 1
	v_add3_u32 v4, v10, v11, v4
	v_sub_co_u32_e32 v5, vcc, v5, v9
	v_subb_co_u32_e32 v4, vcc, v6, v4, vcc
	s_waitcnt lgkmcnt(0)
	v_mul_lo_u32 v4, s0, v4
	v_mul_lo_u32 v6, s1, v5
	v_mad_u64_u32 v[1:2], s[0:1], s0, v5, v[1:2]
	s_addc_u32 s19, s19, 0
	s_add_u32 s6, s6, 8
	v_add3_u32 v2, v6, v2, v4
	v_mov_b32_e32 v4, s10
	v_mov_b32_e32 v5, s11
	s_addc_u32 s7, s7, 0
	v_cmp_ge_u64_e32 vcc, s[18:19], v[4:5]
	s_add_u32 s16, s16, 8
	s_addc_u32 s17, s17, 0
	s_cbranch_vccnz .LBB0_9
; %bb.7:                                ;   in Loop: Header=BB0_2 Depth=1
	v_mov_b32_e32 v5, v7
	v_mov_b32_e32 v6, v8
	s_branch .LBB0_2
.LBB0_8:
	v_mov_b32_e32 v8, v6
	v_mov_b32_e32 v7, v5
.LBB0_9:
	s_lshl_b64 s[0:1], s[10:11], 3
	s_add_u32 s0, s14, s0
	s_addc_u32 s1, s15, s1
	s_load_dwordx2 s[6:7], s[0:1], 0x0
	s_load_dwordx2 s[10:11], s[4:5], 0x20
                                        ; implicit-def: $vgpr38
	s_waitcnt lgkmcnt(0)
	v_mad_u64_u32 v[1:2], s[0:1], s6, v7, v[1:2]
	s_mov_b32 s0, 0x1234568
	v_mul_lo_u32 v3, s6, v8
	v_mul_lo_u32 v4, s7, v7
	v_mul_hi_u32 v5, v0, s0
	v_cmp_gt_u64_e32 vcc, s[10:11], v[7:8]
	v_cmp_le_u64_e64 s[0:1], s[10:11], v[7:8]
	v_add3_u32 v2, v4, v2, v3
	v_mul_u32_u24_e32 v3, 0xe1, v5
	v_sub_u32_e32 v37, v0, v3
                                        ; implicit-def: $sgpr6
	s_and_saveexec_b64 s[4:5], s[0:1]
	s_xor_b64 s[0:1], exec, s[4:5]
; %bb.10:
	v_add_u32_e32 v38, 0xe1, v37
	s_mov_b32 s6, 0
; %bb.11:
	s_or_saveexec_b64 s[4:5], s[0:1]
	v_lshlrev_b64 v[20:21], 4, v[1:2]
	v_mov_b32_e32 v36, s6
                                        ; implicit-def: $vgpr6_vgpr7
                                        ; implicit-def: $vgpr10_vgpr11
                                        ; implicit-def: $vgpr14_vgpr15
                                        ; implicit-def: $vgpr2_vgpr3
                                        ; implicit-def: $vgpr18_vgpr19
	s_xor_b64 exec, exec, s[4:5]
	s_cbranch_execz .LBB0_13
; %bb.12:
	v_mad_u64_u32 v[0:1], s[0:1], s2, v37, 0
	v_add_u32_e32 v38, 0xe1, v37
	v_mov_b32_e32 v4, s13
	v_mad_u64_u32 v[1:2], s[0:1], s3, v37, v[1:2]
	v_mad_u64_u32 v[2:3], s[0:1], s2, v38, 0
	v_add_co_u32_e64 v8, s[0:1], s12, v20
	v_addc_co_u32_e64 v9, s[0:1], v4, v21, s[0:1]
	v_mad_u64_u32 v[3:4], s[0:1], s3, v38, v[3:4]
	v_add_u32_e32 v6, 0x1c2, v37
	v_mad_u64_u32 v[4:5], s[0:1], s2, v6, 0
	v_lshlrev_b64 v[0:1], 4, v[0:1]
	v_mov_b32_e32 v36, v37
	v_add_co_u32_e64 v22, s[0:1], v8, v0
	v_addc_co_u32_e64 v23, s[0:1], v9, v1, s[0:1]
	v_lshlrev_b64 v[0:1], 4, v[2:3]
	v_mov_b32_e32 v2, v5
	v_mad_u64_u32 v[2:3], s[0:1], s3, v6, v[2:3]
	v_add_u32_e32 v3, 0x2a3, v37
	v_mad_u64_u32 v[6:7], s[0:1], s2, v3, 0
	v_add_co_u32_e64 v24, s[0:1], v8, v0
	v_mov_b32_e32 v5, v2
	v_mov_b32_e32 v2, v7
	v_addc_co_u32_e64 v25, s[0:1], v9, v1, s[0:1]
	v_lshlrev_b64 v[0:1], 4, v[4:5]
	v_mad_u64_u32 v[2:3], s[0:1], s3, v3, v[2:3]
	v_add_u32_e32 v5, 0x384, v37
	v_mad_u64_u32 v[3:4], s[0:1], s2, v5, 0
	v_add_co_u32_e64 v26, s[0:1], v8, v0
	v_mov_b32_e32 v7, v2
	v_mov_b32_e32 v2, v4
	v_addc_co_u32_e64 v27, s[0:1], v9, v1, s[0:1]
	v_mad_u64_u32 v[4:5], s[0:1], s3, v5, v[2:3]
	v_lshlrev_b64 v[0:1], 4, v[6:7]
	v_add_co_u32_e64 v28, s[0:1], v8, v0
	v_addc_co_u32_e64 v29, s[0:1], v9, v1, s[0:1]
	v_lshlrev_b64 v[0:1], 4, v[3:4]
	v_add_co_u32_e64 v30, s[0:1], v8, v0
	v_addc_co_u32_e64 v31, s[0:1], v9, v1, s[0:1]
	global_load_dwordx4 v[16:19], v[22:23], off
	global_load_dwordx4 v[0:3], v[24:25], off
	global_load_dwordx4 v[12:15], v[26:27], off
	global_load_dwordx4 v[8:11], v[28:29], off
	global_load_dwordx4 v[4:7], v[30:31], off
.LBB0_13:
	s_or_b64 exec, exec, s[4:5]
	s_waitcnt vmcnt(1)
	v_add_f64 v[22:23], v[8:9], v[12:13]
	s_waitcnt vmcnt(0)
	v_add_f64 v[24:25], v[4:5], v[0:1]
	v_add_f64 v[26:27], v[10:11], v[14:15]
	;; [unrolled: 1-line block ×3, first 2 shown]
	v_add_f64 v[30:31], v[0:1], -v[12:13]
	v_add_f64 v[32:33], v[4:5], -v[8:9]
	v_add_f64 v[34:35], v[0:1], v[16:17]
	v_add_f64 v[39:40], v[12:13], -v[0:1]
	v_fma_f64 v[22:23], v[22:23], -0.5, v[16:17]
	v_add_f64 v[41:42], v[8:9], -v[4:5]
	v_fma_f64 v[16:17], v[24:25], -0.5, v[16:17]
	v_fma_f64 v[24:25], v[26:27], -0.5, v[18:19]
	;; [unrolled: 1-line block ×3, first 2 shown]
	v_add_f64 v[28:29], v[14:15], -v[10:11]
	s_mov_b32 s4, 0x134454ff
	s_mov_b32 s5, 0xbfee6f0e
	;; [unrolled: 1-line block ×4, first 2 shown]
	v_add_f64 v[30:31], v[32:33], v[30:31]
	v_add_f64 v[32:33], v[2:3], -v[6:7]
	v_add_f64 v[39:40], v[41:42], v[39:40]
	v_fma_f64 v[41:42], v[28:29], s[6:7], v[16:17]
	v_fma_f64 v[16:17], v[28:29], s[4:5], v[16:17]
	s_mov_b32 s10, 0x4755a5e
	s_mov_b32 s11, 0xbfe2cf23
	;; [unrolled: 1-line block ×4, first 2 shown]
	v_fma_f64 v[43:44], v[32:33], s[4:5], v[22:23]
	v_fma_f64 v[22:23], v[32:33], s[6:7], v[22:23]
	;; [unrolled: 1-line block ×4, first 2 shown]
	v_add_f64 v[32:33], v[12:13], v[34:35]
	v_add_f64 v[18:19], v[2:3], v[18:19]
	v_add_f64 v[12:13], v[12:13], -v[8:9]
	s_mov_b32 s16, 0x372fe950
	v_fma_f64 v[34:35], v[28:29], s[10:11], v[43:44]
	v_add_f64 v[0:1], v[0:1], -v[4:5]
	s_mov_b32 s17, 0x3fd3c6ef
	v_fma_f64 v[41:42], v[39:40], s[16:17], v[41:42]
	v_add_f64 v[8:9], v[8:9], v[32:33]
	v_add_f64 v[18:19], v[14:15], v[18:19]
	v_fma_f64 v[22:23], v[28:29], s[14:15], v[22:23]
	v_add_f64 v[28:29], v[2:3], -v[14:15]
	v_fma_f64 v[34:35], v[30:31], s[16:17], v[34:35]
	v_add_f64 v[2:3], v[14:15], -v[2:3]
	v_add_f64 v[14:15], v[6:7], -v[10:11]
	v_fma_f64 v[32:33], v[0:1], s[6:7], v[24:25]
	v_add_f64 v[4:5], v[4:5], v[8:9]
	v_add_f64 v[18:19], v[10:11], v[18:19]
	v_fma_f64 v[8:9], v[39:40], s[16:17], v[16:17]
	v_mad_u32_u24 v54, v37, 40, 0
	v_add_f64 v[10:11], v[10:11], -v[6:7]
	ds_write2_b64 v54, v[4:5], v[34:35] offset1:1
	ds_write2_b64 v54, v[41:42], v[8:9] offset0:2 offset1:3
	v_fma_f64 v[4:5], v[12:13], s[4:5], v[26:27]
	v_fma_f64 v[8:9], v[12:13], s[6:7], v[26:27]
	v_add_f64 v[6:7], v[6:7], v[18:19]
	v_fma_f64 v[18:19], v[0:1], s[4:5], v[24:25]
	v_fma_f64 v[16:17], v[30:31], s[16:17], v[22:23]
	v_add_f64 v[14:15], v[14:15], v[28:29]
	v_fma_f64 v[22:23], v[12:13], s[14:15], v[32:33]
	v_add_f64 v[2:3], v[10:11], v[2:3]
	v_fma_f64 v[4:5], v[0:1], s[14:15], v[4:5]
	v_fma_f64 v[0:1], v[0:1], s[10:11], v[8:9]
	v_lshlrev_b32_e32 v55, 5, v37
	v_fma_f64 v[8:9], v[12:13], s[10:11], v[18:19]
	v_sub_u32_e32 v56, v54, v55
	s_movk_i32 s0, 0xcd
	v_fma_f64 v[22:23], v[14:15], s[16:17], v[22:23]
	ds_write_b64 v54, v[16:17] offset:32
	v_fma_f64 v[4:5], v[2:3], s[16:17], v[4:5]
	v_fma_f64 v[10:11], v[2:3], s[16:17], v[0:1]
	s_waitcnt lgkmcnt(0)
	v_fma_f64 v[8:9], v[14:15], s[16:17], v[8:9]
	s_barrier
	v_lshl_add_u32 v39, v38, 3, 0
	v_add_u32_e32 v16, 0xe00, v56
	ds_read_b64 v[14:15], v56 offset:7200
	ds_read_b64 v[44:45], v56
	ds_read_b64 v[18:19], v39
	ds_read2_b64 v[0:3], v16 offset0:2 offset1:227
	s_waitcnt lgkmcnt(0)
	s_barrier
	ds_write2_b64 v54, v[6:7], v[22:23] offset1:1
	ds_write2_b64 v54, v[4:5], v[10:11] offset0:2 offset1:3
	ds_write_b64 v54, v[8:9] offset:32
	v_mul_lo_u16_sdwa v4, v37, s0 dst_sel:DWORD dst_unused:UNUSED_PAD src0_sel:BYTE_0 src1_sel:DWORD
	v_lshrrev_b16_e32 v57, 10, v4
	v_mul_lo_u16_e32 v4, 5, v57
	v_sub_u16_e32 v58, v37, v4
	v_mov_b32_e32 v4, 6
	v_lshlrev_b32_sdwa v8, v4, v58 dst_sel:DWORD dst_unused:UNUSED_PAD src0_sel:DWORD src1_sel:BYTE_0
	s_waitcnt lgkmcnt(0)
	s_barrier
	global_load_dwordx4 v[4:7], v8, s[8:9] offset:16
	global_load_dwordx4 v[10:13], v8, s[8:9]
	global_load_dwordx4 v[32:35], v8, s[8:9] offset:48
	global_load_dwordx4 v[22:25], v8, s[8:9] offset:32
	ds_read2_b64 v[40:43], v16 offset0:2 offset1:227
	ds_read_b64 v[46:47], v39
	ds_read_b64 v[48:49], v56 offset:7200
	ds_read_b64 v[16:17], v56
	s_waitcnt vmcnt(0) lgkmcnt(0)
	s_barrier
	s_movk_i32 s0, 0x96
	v_cmp_gt_u32_e64 s[0:1], s0, v37
	v_mul_f64 v[8:9], v[40:41], v[6:7]
	v_mul_f64 v[26:27], v[46:47], v[12:13]
	;; [unrolled: 1-line block ×8, first 2 shown]
	v_fma_f64 v[24:25], v[0:1], v[4:5], v[8:9]
	v_fma_f64 v[26:27], v[18:19], v[10:11], v[26:27]
	;; [unrolled: 1-line block ×4, first 2 shown]
	v_fma_f64 v[18:19], v[40:41], v[4:5], -v[6:7]
	v_fma_f64 v[8:9], v[42:43], v[22:23], -v[52:53]
	;; [unrolled: 1-line block ×4, first 2 shown]
	v_add_f64 v[12:13], v[44:45], v[26:27]
	v_add_f64 v[0:1], v[26:27], v[30:31]
	;; [unrolled: 1-line block ×3, first 2 shown]
	v_add_f64 v[14:15], v[24:25], -v[26:27]
	v_add_f64 v[4:5], v[18:19], -v[8:9]
	v_add_f64 v[32:33], v[28:29], -v[30:31]
	v_add_f64 v[10:11], v[22:23], -v[6:7]
	v_add_f64 v[34:35], v[26:27], -v[24:25]
	v_add_f64 v[40:41], v[30:31], -v[28:29]
	v_fma_f64 v[0:1], v[0:1], -0.5, v[44:45]
	v_fma_f64 v[2:3], v[2:3], -0.5, v[44:45]
	v_add_f64 v[12:13], v[12:13], v[24:25]
	v_add_f64 v[14:15], v[14:15], v[32:33]
	;; [unrolled: 1-line block ×3, first 2 shown]
	v_fma_f64 v[42:43], v[4:5], s[6:7], v[0:1]
	v_fma_f64 v[44:45], v[10:11], s[4:5], v[2:3]
	;; [unrolled: 1-line block ×4, first 2 shown]
	v_add_f64 v[12:13], v[12:13], v[28:29]
	v_fma_f64 v[34:35], v[10:11], s[10:11], v[42:43]
	v_fma_f64 v[40:41], v[4:5], s[10:11], v[44:45]
	;; [unrolled: 1-line block ×4, first 2 shown]
	v_add_f64 v[10:11], v[12:13], v[30:31]
	v_mov_b32_e32 v42, 3
	v_mul_u32_u24_e32 v43, 0xc8, v57
	v_fma_f64 v[12:13], v[14:15], s[16:17], v[34:35]
	v_fma_f64 v[34:35], v[32:33], s[16:17], v[40:41]
	;; [unrolled: 1-line block ×4, first 2 shown]
	v_lshlrev_b32_sdwa v2, v42, v58 dst_sel:DWORD dst_unused:UNUSED_PAD src0_sel:DWORD src1_sel:BYTE_0
	v_add3_u32 v32, 0, v43, v2
	ds_write2_b64 v32, v[10:11], v[34:35] offset1:5
	ds_write2_b64 v32, v[12:13], v[0:1] offset0:10 offset1:15
	ds_write_b64 v32, v[4:5] offset:160
	s_waitcnt lgkmcnt(0)
	s_barrier
	ds_read_b64 v[2:3], v56
	ds_read_b64 v[10:11], v56 offset:3000
	ds_read_b64 v[12:13], v56 offset:6000
	v_sub_u32_e32 v14, 0, v55
	v_add_u32_e32 v40, v54, v14
                                        ; implicit-def: $vgpr14_vgpr15
	s_and_saveexec_b64 s[18:19], s[0:1]
	s_cbranch_execz .LBB0_15
; %bb.14:
	ds_read_b64 v[0:1], v39
	ds_read_b64 v[4:5], v40 offset:4800
	ds_read_b64 v[14:15], v40 offset:7800
.LBB0_15:
	s_or_b64 exec, exec, s[18:19]
	v_add_f64 v[33:34], v[18:19], v[8:9]
	v_add_f64 v[41:42], v[22:23], v[6:7]
	;; [unrolled: 1-line block ×3, first 2 shown]
	v_add_f64 v[26:27], v[26:27], -v[30:31]
	v_add_f64 v[24:25], v[24:25], -v[28:29]
	;; [unrolled: 1-line block ×4, first 2 shown]
	s_waitcnt lgkmcnt(0)
	v_fma_f64 v[28:29], v[33:34], -0.5, v[16:17]
	v_fma_f64 v[16:17], v[41:42], -0.5, v[16:17]
	v_add_f64 v[33:34], v[6:7], -v[8:9]
	v_add_f64 v[18:19], v[43:44], v[18:19]
	v_add_f64 v[41:42], v[8:9], -v[6:7]
	s_barrier
	v_fma_f64 v[43:44], v[26:27], s[6:7], v[28:29]
	v_fma_f64 v[45:46], v[24:25], s[4:5], v[16:17]
	;; [unrolled: 1-line block ×4, first 2 shown]
	v_add_f64 v[30:31], v[30:31], v[33:34]
	v_add_f64 v[8:9], v[18:19], v[8:9]
	v_add_f64 v[22:23], v[22:23], v[41:42]
	v_fma_f64 v[18:19], v[24:25], s[14:15], v[43:44]
	v_fma_f64 v[33:34], v[26:27], s[14:15], v[45:46]
	v_fma_f64 v[16:17], v[26:27], s[10:11], v[16:17]
	v_fma_f64 v[24:25], v[24:25], s[10:11], v[28:29]
	v_add_f64 v[8:9], v[8:9], v[6:7]
	v_fma_f64 v[18:19], v[30:31], s[16:17], v[18:19]
	v_fma_f64 v[26:27], v[22:23], s[16:17], v[33:34]
	;; [unrolled: 1-line block ×4, first 2 shown]
                                        ; implicit-def: $vgpr24_vgpr25
	ds_write2_b64 v32, v[8:9], v[18:19] offset1:5
	ds_write2_b64 v32, v[26:27], v[6:7] offset0:10 offset1:15
	ds_write_b64 v32, v[16:17] offset:160
	s_waitcnt lgkmcnt(0)
	s_barrier
	ds_read_b64 v[8:9], v40
	ds_read_b64 v[18:19], v40 offset:3000
	ds_read_b64 v[22:23], v40 offset:6000
	s_and_saveexec_b64 s[4:5], s[0:1]
	s_cbranch_execz .LBB0_17
; %bb.16:
	ds_read_b64 v[6:7], v39
	ds_read_b64 v[16:17], v40 offset:4800
	ds_read_b64 v[24:25], v40 offset:7800
.LBB0_17:
	s_or_b64 exec, exec, s[4:5]
	v_mov_b32_e32 v26, 41
	v_mul_lo_u16_sdwa v26, v37, v26 dst_sel:DWORD dst_unused:UNUSED_PAD src0_sel:BYTE_0 src1_sel:DWORD
	v_lshrrev_b16_e32 v60, 10, v26
	v_mul_lo_u16_e32 v26, 25, v60
	v_sub_u16_e32 v61, v37, v26
	v_mov_b32_e32 v26, 5
	v_lshlrev_b32_sdwa v26, v26, v61 dst_sel:DWORD dst_unused:UNUSED_PAD src0_sel:DWORD src1_sel:BYTE_0
	s_movk_i32 s4, 0x47af
	global_load_dwordx4 v[42:45], v26, s[8:9] offset:320
	global_load_dwordx4 v[46:49], v26, s[8:9] offset:336
	v_mul_u32_u24_sdwa v26, v38, s4 dst_sel:DWORD dst_unused:UNUSED_PAD src0_sel:WORD_0 src1_sel:DWORD
	v_sub_u16_sdwa v27, v38, v26 dst_sel:DWORD dst_unused:UNUSED_PAD src0_sel:DWORD src1_sel:WORD_1
	v_lshrrev_b16_e32 v27, 1, v27
	v_add_u16_sdwa v26, v27, v26 dst_sel:DWORD dst_unused:UNUSED_PAD src0_sel:DWORD src1_sel:WORD_1
	v_lshrrev_b16_e32 v41, 4, v26
	v_mul_lo_u16_e32 v26, 25, v41
	v_sub_u16_e32 v62, v38, v26
	v_lshlrev_b32_e32 v26, 5, v62
	global_load_dwordx4 v[50:53], v26, s[8:9] offset:320
	global_load_dwordx4 v[54:57], v26, s[8:9] offset:336
	s_mov_b32 s4, 0xe8584caa
	s_mov_b32 s5, 0xbfebb67a
	;; [unrolled: 1-line block ×4, first 2 shown]
	s_waitcnt vmcnt(0) lgkmcnt(0)
	s_barrier
	v_mul_f64 v[26:27], v[18:19], v[44:45]
	v_mul_f64 v[30:31], v[22:23], v[48:49]
	;; [unrolled: 1-line block ×4, first 2 shown]
	v_fma_f64 v[28:29], v[10:11], v[42:43], v[26:27]
	v_mul_f64 v[34:35], v[16:17], v[52:53]
	v_mul_f64 v[58:59], v[24:25], v[56:57]
	;; [unrolled: 1-line block ×4, first 2 shown]
	v_fma_f64 v[32:33], v[12:13], v[46:47], v[30:31]
	v_fma_f64 v[10:11], v[22:23], v[46:47], -v[48:49]
	v_fma_f64 v[26:27], v[4:5], v[50:51], v[34:35]
	v_fma_f64 v[30:31], v[14:15], v[54:55], v[58:59]
	v_fma_f64 v[34:35], v[18:19], v[42:43], -v[44:45]
	v_fma_f64 v[22:23], v[16:17], v[50:51], -v[52:53]
	;; [unrolled: 1-line block ×3, first 2 shown]
	v_add_f64 v[4:5], v[28:29], v[32:33]
	v_add_f64 v[16:17], v[2:3], v[28:29]
	v_add_f64 v[24:25], v[0:1], v[26:27]
	v_add_f64 v[12:13], v[26:27], v[30:31]
	v_add_f64 v[18:19], v[34:35], -v[10:11]
	v_add_f64 v[42:43], v[22:23], -v[14:15]
	v_fma_f64 v[2:3], v[4:5], -0.5, v[2:3]
	v_add_f64 v[16:17], v[16:17], v[32:33]
	v_fma_f64 v[12:13], v[12:13], -0.5, v[0:1]
	v_add_f64 v[0:1], v[24:25], v[30:31]
	v_lshlrev_b32_e32 v24, 3, v62
	v_fma_f64 v[44:45], v[18:19], s[4:5], v[2:3]
	v_fma_f64 v[18:19], v[18:19], s[6:7], v[2:3]
	;; [unrolled: 1-line block ×4, first 2 shown]
	v_mov_b32_e32 v13, 3
	v_mul_u32_u24_e32 v12, 0x258, v60
	v_lshlrev_b32_sdwa v13, v13, v61 dst_sel:DWORD dst_unused:UNUSED_PAD src0_sel:DWORD src1_sel:BYTE_0
	v_add3_u32 v25, 0, v12, v13
	ds_write2_b64 v25, v[16:17], v[44:45] offset1:25
	ds_write_b64 v25, v[18:19] offset:400
	s_and_saveexec_b64 s[4:5], s[0:1]
	s_cbranch_execz .LBB0_19
; %bb.18:
	v_mul_lo_u16_e32 v12, 0x4b, v41
	v_lshlrev_b32_e32 v12, 3, v12
	v_add3_u32 v12, 0, v24, v12
	ds_write2_b64 v12, v[0:1], v[4:5] offset1:25
	ds_write_b64 v12, v[2:3] offset:400
.LBB0_19:
	s_or_b64 exec, exec, s[4:5]
	s_waitcnt lgkmcnt(0)
	s_barrier
	ds_read_b64 v[12:13], v40
	ds_read_b64 v[16:17], v40 offset:3000
	ds_read_b64 v[18:19], v40 offset:6000
	s_and_saveexec_b64 s[4:5], s[0:1]
	s_cbranch_execz .LBB0_21
; %bb.20:
	ds_read_b64 v[0:1], v39
	ds_read_b64 v[4:5], v40 offset:4800
	ds_read_b64 v[2:3], v40 offset:7800
.LBB0_21:
	s_or_b64 exec, exec, s[4:5]
	v_add_f64 v[42:43], v[34:35], v[10:11]
	v_add_f64 v[44:45], v[22:23], v[14:15]
	;; [unrolled: 1-line block ×3, first 2 shown]
	v_add_f64 v[28:29], v[28:29], -v[32:33]
	v_add_f64 v[22:23], v[6:7], v[22:23]
	v_add_f64 v[26:27], v[26:27], -v[30:31]
	s_mov_b32 s4, 0xe8584caa
	s_mov_b32 s5, 0x3febb67a
	v_fma_f64 v[8:9], v[42:43], -0.5, v[8:9]
	v_fma_f64 v[6:7], v[44:45], -0.5, v[6:7]
	s_mov_b32 s7, 0xbfebb67a
	s_mov_b32 s6, s4
	v_add_f64 v[30:31], v[34:35], v[10:11]
	v_add_f64 v[10:11], v[22:23], v[14:15]
	s_waitcnt lgkmcnt(0)
	s_barrier
	v_fma_f64 v[22:23], v[28:29], s[4:5], v[8:9]
	v_fma_f64 v[28:29], v[28:29], s[6:7], v[8:9]
	;; [unrolled: 1-line block ×4, first 2 shown]
	ds_write2_b64 v25, v[30:31], v[22:23] offset1:25
	ds_write_b64 v25, v[28:29] offset:400
	s_and_saveexec_b64 s[4:5], s[0:1]
	s_cbranch_execz .LBB0_23
; %bb.22:
	v_mul_lo_u16_e32 v6, 0x4b, v41
	v_lshlrev_b32_e32 v6, 3, v6
	v_add3_u32 v6, 0, v24, v6
	ds_write2_b64 v6, v[10:11], v[14:15] offset1:25
	ds_write_b64 v6, v[8:9] offset:400
.LBB0_23:
	s_or_b64 exec, exec, s[4:5]
	s_waitcnt lgkmcnt(0)
	s_barrier
	ds_read_b64 v[6:7], v40
	ds_read_b64 v[24:25], v40 offset:3000
	ds_read_b64 v[22:23], v40 offset:6000
	s_and_saveexec_b64 s[4:5], s[0:1]
	s_cbranch_execz .LBB0_25
; %bb.24:
	ds_read_b64 v[10:11], v39
	ds_read_b64 v[14:15], v40 offset:4800
	ds_read_b64 v[8:9], v40 offset:7800
.LBB0_25:
	s_or_b64 exec, exec, s[4:5]
	s_movk_i32 s4, 0xdb
	v_mul_lo_u16_sdwa v26, v37, s4 dst_sel:DWORD dst_unused:UNUSED_PAD src0_sel:BYTE_0 src1_sel:DWORD
	v_lshrrev_b16_e32 v35, 14, v26
	v_mul_lo_u16_e32 v26, 0x4b, v35
	v_sub_u16_e32 v53, v37, v26
	v_mov_b32_e32 v26, 5
	v_lshlrev_b32_sdwa v30, v26, v53 dst_sel:DWORD dst_unused:UNUSED_PAD src0_sel:DWORD src1_sel:BYTE_0
	global_load_dwordx4 v[26:29], v30, s[8:9] offset:1120
	global_load_dwordx4 v[31:34], v30, s[8:9] offset:1136
	s_mov_b32 s4, 0xb4e9
	v_mul_u32_u24_sdwa v30, v38, s4 dst_sel:DWORD dst_unused:UNUSED_PAD src0_sel:WORD_0 src1_sel:DWORD
	v_sub_u16_sdwa v41, v38, v30 dst_sel:DWORD dst_unused:UNUSED_PAD src0_sel:DWORD src1_sel:WORD_1
	v_lshrrev_b16_e32 v41, 1, v41
	v_add_u16_sdwa v30, v41, v30 dst_sel:DWORD dst_unused:UNUSED_PAD src0_sel:DWORD src1_sel:WORD_1
	v_lshrrev_b16_e32 v30, 6, v30
	v_mul_lo_u16_e32 v41, 0x4b, v30
	v_sub_u16_e32 v38, v38, v41
	v_lshlrev_b32_e32 v49, 5, v38
	global_load_dwordx4 v[41:44], v49, s[8:9] offset:1120
	global_load_dwordx4 v[45:48], v49, s[8:9] offset:1136
	s_mov_b32 s4, 0xe8584caa
	s_mov_b32 s5, 0xbfebb67a
	;; [unrolled: 1-line block ×4, first 2 shown]
	v_mul_u32_u24_e32 v35, 0x708, v35
	s_waitcnt vmcnt(0) lgkmcnt(0)
	s_barrier
	v_mul_f64 v[49:50], v[24:25], v[28:29]
	v_mul_f64 v[51:52], v[22:23], v[33:34]
	v_mul_f64 v[28:29], v[16:17], v[28:29]
	v_mul_f64 v[33:34], v[18:19], v[33:34]
	v_fma_f64 v[16:17], v[16:17], v[26:27], v[49:50]
	v_fma_f64 v[18:19], v[18:19], v[31:32], v[51:52]
	v_fma_f64 v[24:25], v[24:25], v[26:27], -v[28:29]
	v_fma_f64 v[22:23], v[22:23], v[31:32], -v[33:34]
	v_mul_f64 v[28:29], v[14:15], v[43:44]
	v_mul_f64 v[31:32], v[4:5], v[43:44]
	v_mul_f64 v[49:50], v[8:9], v[47:48]
	v_mul_f64 v[47:48], v[2:3], v[47:48]
	v_add_f64 v[33:34], v[12:13], v[16:17]
	v_add_f64 v[26:27], v[16:17], v[18:19]
	v_mov_b32_e32 v51, 3
	v_add_f64 v[43:44], v[24:25], -v[22:23]
	v_lshlrev_b32_sdwa v51, v51, v53 dst_sel:DWORD dst_unused:UNUSED_PAD src0_sel:DWORD src1_sel:BYTE_0
	v_fma_f64 v[14:15], v[14:15], v[41:42], -v[31:32]
	v_add3_u32 v32, 0, v35, v51
	v_lshlrev_b32_e32 v31, 3, v38
	v_fma_f64 v[26:27], v[26:27], -0.5, v[12:13]
	v_fma_f64 v[12:13], v[4:5], v[41:42], v[28:29]
	v_add_f64 v[4:5], v[33:34], v[18:19]
	v_fma_f64 v[28:29], v[2:3], v[45:46], v[49:50]
	v_fma_f64 v[33:34], v[43:44], s[4:5], v[26:27]
	;; [unrolled: 1-line block ×3, first 2 shown]
	v_fma_f64 v[26:27], v[8:9], v[45:46], -v[47:48]
	ds_write2_b64 v32, v[4:5], v[33:34] offset1:75
	ds_write_b64 v32, v[41:42] offset:1200
	s_and_saveexec_b64 s[10:11], s[0:1]
	s_cbranch_execz .LBB0_27
; %bb.26:
	v_add_f64 v[2:3], v[12:13], v[28:29]
	v_add_f64 v[4:5], v[14:15], -v[26:27]
	v_add_f64 v[8:9], v[0:1], v[12:13]
	v_fma_f64 v[0:1], v[2:3], -0.5, v[0:1]
	v_add_f64 v[2:3], v[8:9], v[28:29]
	v_fma_f64 v[8:9], v[4:5], s[4:5], v[0:1]
	v_fma_f64 v[0:1], v[4:5], s[6:7], v[0:1]
	v_mul_lo_u16_e32 v4, 0xe1, v30
	v_lshlrev_b32_e32 v4, 3, v4
	v_add3_u32 v4, 0, v31, v4
	ds_write2_b64 v4, v[2:3], v[8:9] offset1:75
	ds_write_b64 v4, v[0:1] offset:1200
.LBB0_27:
	s_or_b64 exec, exec, s[10:11]
	v_add_f64 v[0:1], v[24:25], v[22:23]
	v_add_f64 v[2:3], v[6:7], v[24:25]
	v_add_f64 v[4:5], v[16:17], -v[18:19]
	s_waitcnt lgkmcnt(0)
	s_barrier
	v_fma_f64 v[0:1], v[0:1], -0.5, v[6:7]
	v_add_f64 v[16:17], v[2:3], v[22:23]
	ds_read_b64 v[6:7], v40 offset:7200
	v_fma_f64 v[18:19], v[4:5], s[6:7], v[0:1]
	v_fma_f64 v[22:23], v[4:5], s[4:5], v[0:1]
	v_add_u32_e32 v0, 0xe00, v40
	ds_read_b64 v[4:5], v40
	ds_read_b64 v[8:9], v39
	ds_read2_b64 v[0:3], v0 offset0:2 offset1:227
	s_waitcnt lgkmcnt(0)
	s_barrier
	ds_write2_b64 v32, v[16:17], v[18:19] offset1:75
	ds_write_b64 v32, v[22:23] offset:1200
	s_and_saveexec_b64 s[4:5], s[0:1]
	s_cbranch_execz .LBB0_29
; %bb.28:
	v_add_f64 v[16:17], v[14:15], v[26:27]
	v_add_f64 v[14:15], v[10:11], v[14:15]
	v_add_f64 v[12:13], v[12:13], -v[28:29]
	s_mov_b32 s1, 0x3febb67a
	s_mov_b32 s0, 0xe8584caa
	v_fma_f64 v[10:11], v[16:17], -0.5, v[10:11]
	v_add_f64 v[14:15], v[14:15], v[26:27]
	v_fma_f64 v[16:17], v[12:13], s[0:1], v[10:11]
	s_mov_b32 s1, 0xbfebb67a
	v_fma_f64 v[10:11], v[12:13], s[0:1], v[10:11]
	v_mul_lo_u16_e32 v12, 0xe1, v30
	v_lshlrev_b32_e32 v12, 3, v12
	v_add3_u32 v12, 0, v31, v12
	ds_write2_b64 v12, v[14:15], v[16:17] offset1:75
	ds_write_b64 v12, v[10:11] offset:1200
.LBB0_29:
	s_or_b64 exec, exec, s[4:5]
	s_waitcnt lgkmcnt(0)
	s_barrier
	s_and_saveexec_b64 s[0:1], vcc
	s_cbranch_execz .LBB0_31
; %bb.30:
	v_lshlrev_b32_e32 v10, 2, v37
	v_mov_b32_e32 v11, 0
	v_lshlrev_b64 v[10:11], 4, v[10:11]
	v_mov_b32_e32 v12, s9
	v_add_co_u32_e32 v18, vcc, s8, v10
	v_addc_co_u32_e32 v19, vcc, v12, v11, vcc
	global_load_dwordx4 v[10:13], v[18:19], off offset:3536
	global_load_dwordx4 v[14:17], v[18:19], off offset:3552
	;; [unrolled: 1-line block ×4, first 2 shown]
	v_mov_b32_e32 v41, s13
	v_add_u32_e32 v48, 0x1c2, v36
	v_add_co_u32_e32 v58, vcc, s12, v20
	v_add_u32_e32 v30, 0xe00, v40
	ds_read_b64 v[18:19], v39
	ds_read_b64 v[34:35], v40 offset:7200
	ds_read_b64 v[37:38], v40
	v_mad_u64_u32 v[39:40], s[14:15], s2, v36, 0
	v_add_u32_e32 v47, 0xe1, v36
	v_addc_co_u32_e32 v59, vcc, v41, v21, vcc
	v_mad_u64_u32 v[41:42], s[12:13], s2, v48, 0
	v_mad_u64_u32 v[20:21], s[12:13], s2, v47, 0
	;; [unrolled: 1-line block ×3, first 2 shown]
	v_mov_b32_e32 v40, v42
	ds_read2_b64 v[30:33], v30 offset0:2 offset1:227
	s_mov_b32 s4, 0x134454ff
	s_mov_b32 s5, 0x3fee6f0e
	s_mov_b32 s11, 0xbfee6f0e
	s_mov_b32 s10, s4
	s_mov_b32 s6, 0x4755a5e
	s_mov_b32 s7, 0xbfe2cf23
	s_mov_b32 s9, 0x3fe2cf23
	s_mov_b32 s8, s6
	s_mov_b32 s0, 0x372fe950
	s_mov_b32 s1, 0x3fd3c6ef
	v_add_u32_e32 v57, 0x2a3, v36
	v_mad_u64_u32 v[43:44], s[12:13], s2, v57, 0
	s_waitcnt vmcnt(1)
	v_mad_u64_u32 v[46:47], s[12:13], s3, v47, v[21:22]
	v_mad_u64_u32 v[47:48], s[12:13], s3, v48, v[40:41]
	v_mov_b32_e32 v40, v45
	v_mov_b32_e32 v21, v46
	;; [unrolled: 1-line block ×3, first 2 shown]
	v_mul_f64 v[45:46], v[0:1], v[12:13]
	v_mul_f64 v[47:48], v[2:3], v[16:17]
	;; [unrolled: 1-line block ×3, first 2 shown]
	s_waitcnt vmcnt(0)
	v_mul_f64 v[51:52], v[6:7], v[28:29]
	s_waitcnt lgkmcnt(0)
	v_mul_f64 v[12:13], v[30:31], v[12:13]
	v_mul_f64 v[16:17], v[32:33], v[16:17]
	;; [unrolled: 1-line block ×4, first 2 shown]
	v_fma_f64 v[30:31], v[30:31], v[10:11], -v[45:46]
	v_fma_f64 v[32:33], v[32:33], v[14:15], -v[47:48]
	;; [unrolled: 1-line block ×4, first 2 shown]
	v_fma_f64 v[0:1], v[0:1], v[10:11], v[12:13]
	v_fma_f64 v[2:3], v[2:3], v[14:15], v[16:17]
	;; [unrolled: 1-line block ×4, first 2 shown]
	v_lshlrev_b64 v[39:40], 4, v[39:40]
	v_add_f64 v[28:29], v[30:31], v[32:33]
	v_add_f64 v[10:11], v[30:31], -v[18:19]
	v_add_f64 v[12:13], v[32:33], -v[34:35]
	v_add_f64 v[16:17], v[18:19], v[34:35]
	v_add_f64 v[45:46], v[18:19], v[37:38]
	v_add_f64 v[47:48], v[0:1], -v[8:9]
	v_add_f64 v[51:52], v[8:9], v[6:7]
	v_add_f64 v[22:23], v[8:9], -v[6:7]
	v_add_f64 v[55:56], v[8:9], -v[0:1]
	v_add_f64 v[8:9], v[4:5], v[8:9]
	v_add_f64 v[12:13], v[10:11], v[12:13]
	;; [unrolled: 1-line block ×3, first 2 shown]
	v_add_f64 v[14:15], v[0:1], -v[2:3]
	v_add_f64 v[24:25], v[18:19], -v[30:31]
	;; [unrolled: 1-line block ×5, first 2 shown]
	v_fma_f64 v[16:17], v[16:17], -0.5, v[37:38]
	v_fma_f64 v[28:29], v[28:29], -0.5, v[37:38]
	v_add_f64 v[30:31], v[30:31], v[45:46]
	v_fma_f64 v[45:46], v[51:52], -0.5, v[4:5]
	v_fma_f64 v[4:5], v[10:11], -0.5, v[4:5]
	v_add_f64 v[49:50], v[2:3], -v[6:7]
	v_add_f64 v[0:1], v[0:1], v[8:9]
	v_add_f64 v[24:25], v[24:25], v[26:27]
	v_add_f64 v[26:27], v[6:7], -v[2:3]
	v_fma_f64 v[8:9], v[14:15], s[4:5], v[16:17]
	v_fma_f64 v[10:11], v[14:15], s[10:11], v[16:17]
	;; [unrolled: 1-line block ×4, first 2 shown]
	v_add_f64 v[30:31], v[32:33], v[30:31]
	v_fma_f64 v[32:33], v[18:19], s[10:11], v[4:5]
	v_add_f64 v[37:38], v[47:48], v[49:50]
	v_fma_f64 v[47:48], v[53:54], s[10:11], v[45:46]
	v_fma_f64 v[45:46], v[53:54], s[4:5], v[45:46]
	v_add_f64 v[0:1], v[0:1], v[2:3]
	v_add_f64 v[26:27], v[55:56], v[26:27]
	v_fma_f64 v[4:5], v[18:19], s[4:5], v[4:5]
	v_fma_f64 v[8:9], v[22:23], s[6:7], v[8:9]
	;; [unrolled: 1-line block ×6, first 2 shown]
	v_add_f64 v[2:3], v[34:35], v[30:31]
	v_add_f64 v[0:1], v[0:1], v[6:7]
	v_fma_f64 v[16:17], v[14:15], s[6:7], v[16:17]
	v_fma_f64 v[30:31], v[18:19], s[8:9], v[47:48]
	;; [unrolled: 1-line block ×5, first 2 shown]
	v_add_co_u32_e32 v39, vcc, v58, v39
	v_lshlrev_b64 v[20:21], 4, v[20:21]
	v_addc_co_u32_e32 v40, vcc, v59, v40, vcc
	v_add_co_u32_e32 v20, vcc, v58, v20
	v_fma_f64 v[10:11], v[12:13], s[0:1], v[8:9]
	v_fma_f64 v[14:15], v[12:13], s[0:1], v[22:23]
	;; [unrolled: 1-line block ×3, first 2 shown]
	v_addc_co_u32_e32 v21, vcc, v59, v21, vcc
	global_store_dwordx4 v[39:40], v[0:3], off
	global_store_dwordx4 v[20:21], v[4:7], off
	v_mov_b32_e32 v2, v44
	v_fma_f64 v[18:19], v[24:25], s[0:1], v[16:17]
	v_fma_f64 v[8:9], v[37:38], s[0:1], v[30:31]
	;; [unrolled: 1-line block ×3, first 2 shown]
	v_mad_u64_u32 v[2:3], s[0:1], s3, v57, v[2:3]
	v_add_u32_e32 v5, 0x384, v36
	v_mad_u64_u32 v[3:4], s[0:1], s2, v5, 0
	v_lshlrev_b64 v[41:42], 4, v[41:42]
	v_mov_b32_e32 v44, v2
	v_add_co_u32_e32 v0, vcc, v58, v41
	v_addc_co_u32_e32 v1, vcc, v59, v42, vcc
	v_mov_b32_e32 v2, v4
	global_store_dwordx4 v[0:1], v[12:15], off
	v_lshlrev_b64 v[0:1], 4, v[43:44]
	v_mad_u64_u32 v[4:5], s[0:1], s3, v5, v[2:3]
	v_add_co_u32_e32 v0, vcc, v58, v0
	v_addc_co_u32_e32 v1, vcc, v59, v1, vcc
	global_store_dwordx4 v[0:1], v[8:11], off
	v_lshlrev_b64 v[0:1], 4, v[3:4]
	v_add_co_u32_e32 v0, vcc, v58, v0
	v_addc_co_u32_e32 v1, vcc, v59, v1, vcc
	global_store_dwordx4 v[0:1], v[16:19], off
.LBB0_31:
	s_endpgm
	.section	.rodata,"a",@progbits
	.p2align	6, 0x0
	.amdhsa_kernel fft_rtc_back_len1125_factors_5_5_3_3_5_wgs_225_tpt_225_halfLds_dp_ip_CI_sbrr_dirReg
		.amdhsa_group_segment_fixed_size 0
		.amdhsa_private_segment_fixed_size 0
		.amdhsa_kernarg_size 88
		.amdhsa_user_sgpr_count 6
		.amdhsa_user_sgpr_private_segment_buffer 1
		.amdhsa_user_sgpr_dispatch_ptr 0
		.amdhsa_user_sgpr_queue_ptr 0
		.amdhsa_user_sgpr_kernarg_segment_ptr 1
		.amdhsa_user_sgpr_dispatch_id 0
		.amdhsa_user_sgpr_flat_scratch_init 0
		.amdhsa_user_sgpr_private_segment_size 0
		.amdhsa_uses_dynamic_stack 0
		.amdhsa_system_sgpr_private_segment_wavefront_offset 0
		.amdhsa_system_sgpr_workgroup_id_x 1
		.amdhsa_system_sgpr_workgroup_id_y 0
		.amdhsa_system_sgpr_workgroup_id_z 0
		.amdhsa_system_sgpr_workgroup_info 0
		.amdhsa_system_vgpr_workitem_id 0
		.amdhsa_next_free_vgpr 63
		.amdhsa_next_free_sgpr 24
		.amdhsa_reserve_vcc 1
		.amdhsa_reserve_flat_scratch 0
		.amdhsa_float_round_mode_32 0
		.amdhsa_float_round_mode_16_64 0
		.amdhsa_float_denorm_mode_32 3
		.amdhsa_float_denorm_mode_16_64 3
		.amdhsa_dx10_clamp 1
		.amdhsa_ieee_mode 1
		.amdhsa_fp16_overflow 0
		.amdhsa_exception_fp_ieee_invalid_op 0
		.amdhsa_exception_fp_denorm_src 0
		.amdhsa_exception_fp_ieee_div_zero 0
		.amdhsa_exception_fp_ieee_overflow 0
		.amdhsa_exception_fp_ieee_underflow 0
		.amdhsa_exception_fp_ieee_inexact 0
		.amdhsa_exception_int_div_zero 0
	.end_amdhsa_kernel
	.text
.Lfunc_end0:
	.size	fft_rtc_back_len1125_factors_5_5_3_3_5_wgs_225_tpt_225_halfLds_dp_ip_CI_sbrr_dirReg, .Lfunc_end0-fft_rtc_back_len1125_factors_5_5_3_3_5_wgs_225_tpt_225_halfLds_dp_ip_CI_sbrr_dirReg
                                        ; -- End function
	.section	.AMDGPU.csdata,"",@progbits
; Kernel info:
; codeLenInByte = 5720
; NumSgprs: 28
; NumVgprs: 63
; ScratchSize: 0
; MemoryBound: 1
; FloatMode: 240
; IeeeMode: 1
; LDSByteSize: 0 bytes/workgroup (compile time only)
; SGPRBlocks: 3
; VGPRBlocks: 15
; NumSGPRsForWavesPerEU: 28
; NumVGPRsForWavesPerEU: 63
; Occupancy: 4
; WaveLimiterHint : 1
; COMPUTE_PGM_RSRC2:SCRATCH_EN: 0
; COMPUTE_PGM_RSRC2:USER_SGPR: 6
; COMPUTE_PGM_RSRC2:TRAP_HANDLER: 0
; COMPUTE_PGM_RSRC2:TGID_X_EN: 1
; COMPUTE_PGM_RSRC2:TGID_Y_EN: 0
; COMPUTE_PGM_RSRC2:TGID_Z_EN: 0
; COMPUTE_PGM_RSRC2:TIDIG_COMP_CNT: 0
	.type	__hip_cuid_62e13704042c0698,@object ; @__hip_cuid_62e13704042c0698
	.section	.bss,"aw",@nobits
	.globl	__hip_cuid_62e13704042c0698
__hip_cuid_62e13704042c0698:
	.byte	0                               ; 0x0
	.size	__hip_cuid_62e13704042c0698, 1

	.ident	"AMD clang version 19.0.0git (https://github.com/RadeonOpenCompute/llvm-project roc-6.4.0 25133 c7fe45cf4b819c5991fe208aaa96edf142730f1d)"
	.section	".note.GNU-stack","",@progbits
	.addrsig
	.addrsig_sym __hip_cuid_62e13704042c0698
	.amdgpu_metadata
---
amdhsa.kernels:
  - .args:
      - .actual_access:  read_only
        .address_space:  global
        .offset:         0
        .size:           8
        .value_kind:     global_buffer
      - .offset:         8
        .size:           8
        .value_kind:     by_value
      - .actual_access:  read_only
        .address_space:  global
        .offset:         16
        .size:           8
        .value_kind:     global_buffer
      - .actual_access:  read_only
        .address_space:  global
        .offset:         24
        .size:           8
        .value_kind:     global_buffer
      - .offset:         32
        .size:           8
        .value_kind:     by_value
      - .actual_access:  read_only
        .address_space:  global
        .offset:         40
        .size:           8
        .value_kind:     global_buffer
      - .actual_access:  read_only
        .address_space:  global
        .offset:         48
        .size:           8
        .value_kind:     global_buffer
      - .offset:         56
        .size:           4
        .value_kind:     by_value
      - .actual_access:  read_only
        .address_space:  global
        .offset:         64
        .size:           8
        .value_kind:     global_buffer
      - .actual_access:  read_only
        .address_space:  global
        .offset:         72
        .size:           8
        .value_kind:     global_buffer
      - .address_space:  global
        .offset:         80
        .size:           8
        .value_kind:     global_buffer
    .group_segment_fixed_size: 0
    .kernarg_segment_align: 8
    .kernarg_segment_size: 88
    .language:       OpenCL C
    .language_version:
      - 2
      - 0
    .max_flat_workgroup_size: 225
    .name:           fft_rtc_back_len1125_factors_5_5_3_3_5_wgs_225_tpt_225_halfLds_dp_ip_CI_sbrr_dirReg
    .private_segment_fixed_size: 0
    .sgpr_count:     28
    .sgpr_spill_count: 0
    .symbol:         fft_rtc_back_len1125_factors_5_5_3_3_5_wgs_225_tpt_225_halfLds_dp_ip_CI_sbrr_dirReg.kd
    .uniform_work_group_size: 1
    .uses_dynamic_stack: false
    .vgpr_count:     63
    .vgpr_spill_count: 0
    .wavefront_size: 64
amdhsa.target:   amdgcn-amd-amdhsa--gfx906
amdhsa.version:
  - 1
  - 2
...

	.end_amdgpu_metadata
